;; amdgpu-corpus repo=zjin-lcf/HeCBench kind=compiled arch=gfx1030 opt=O3
	.amdgcn_target "amdgcn-amd-amdhsa--gfx1030"
	.amdhsa_code_object_version 6
	.text
	.protected	_Z24kernel_128_winograd_BtdBPKfPf ; -- Begin function _Z24kernel_128_winograd_BtdBPKfPf
	.globl	_Z24kernel_128_winograd_BtdBPKfPf
	.p2align	8
	.type	_Z24kernel_128_winograd_BtdBPKfPf,@function
_Z24kernel_128_winograd_BtdBPKfPf:      ; @_Z24kernel_128_winograd_BtdBPKfPf
; %bb.0:
	v_lshl_add_u32 v2, v1, 7, v0
	s_load_dwordx4 s[0:3], s[4:5], 0x0
	s_lshl_b32 s4, s6, 13
	s_lshl_b32 s5, s7, 9
	v_add3_u32 v2, s4, s5, v2
	v_ashrrev_i32_e32 v3, 31, v2
	v_lshlrev_b64 v[2:3], 2, v[2:3]
	s_waitcnt lgkmcnt(0)
	v_add_co_u32 v2, vcc_lo, s0, v2
	v_add_co_ci_u32_e64 v3, null, s1, v3, vcc_lo
	s_mov_b32 s0, exec_lo
	v_add_co_u32 v4, vcc_lo, 0x2000, v2
	v_add_co_ci_u32_e64 v5, null, 0, v3, vcc_lo
	v_add_co_u32 v6, vcc_lo, 0x4000, v2
	v_add_co_ci_u32_e64 v7, null, 0, v3, vcc_lo
	;; [unrolled: 2-line block ×5, first 2 shown]
	s_clause 0x5
	global_load_dword v3, v[2:3], off
	global_load_dword v4, v[4:5], off
	;; [unrolled: 1-line block ×6, first 2 shown]
	v_lshl_add_u32 v2, v1, 9, 0
	v_lshl_add_u32 v9, v0, 2, v2
	s_waitcnt vmcnt(4)
	ds_write2st64_b32 v9, v3, v4 offset1:12
	s_waitcnt vmcnt(2)
	ds_write2st64_b32 v9, v5, v6 offset0:24 offset1:36
	s_waitcnt vmcnt(0)
	ds_write2st64_b32 v9, v7, v8 offset0:48 offset1:60
	s_waitcnt lgkmcnt(0)
	s_barrier
	buffer_gl0_inv
                                        ; implicit-def: $vgpr3
                                        ; implicit-def: $vgpr4
                                        ; implicit-def: $vgpr5
                                        ; implicit-def: $vgpr6
                                        ; implicit-def: $vgpr7
                                        ; implicit-def: $vgpr8
	v_cmpx_lt_i32_e32 2, v1
	s_xor_b32 s0, exec_lo, s0
	s_cbranch_execz .LBB0_12
; %bb.1:
	s_mov_b32 s1, exec_lo
                                        ; implicit-def: $vgpr3
                                        ; implicit-def: $vgpr4
                                        ; implicit-def: $vgpr5
                                        ; implicit-def: $vgpr6
                                        ; implicit-def: $vgpr7
                                        ; implicit-def: $vgpr8
	v_cmpx_lt_i32_e32 3, v1
	s_xor_b32 s1, exec_lo, s1
	s_cbranch_execz .LBB0_9
; %bb.2:
	s_mov_b32 s4, exec_lo
	;; [unrolled: 11-line block ×3, first 2 shown]
	v_cmpx_ne_u32_e32 5, v1
	s_xor_b32 s5, exec_lo, s5
	s_or_saveexec_b32 s5, s5
	v_mov_b32_e32 v3, 0
	v_mov_b32_e32 v4, 0
	;; [unrolled: 1-line block ×6, first 2 shown]
	s_xor_b32 exec_lo, exec_lo, s5
	s_cbranch_execz .LBB0_5
; %bb.4:
	v_lshl_add_u32 v19, v0, 2, 0
	ds_read2st64_b32 v[3:4], v19 offset0:36 offset1:38
	ds_read2st64_b32 v[5:6], v19 offset0:40 offset1:42
	;; [unrolled: 1-line block ×9, first 2 shown]
	s_waitcnt lgkmcnt(8)
	v_mul_f32_e32 v3, 0x40a00000, v3
	v_mul_f32_e32 v4, 0x40a00000, v4
	s_waitcnt lgkmcnt(7)
	v_mul_f32_e32 v5, 0x40a00000, v5
	v_mul_f32_e32 v6, 0x40a00000, v6
	;; [unrolled: 3-line block ×3, first 2 shown]
	s_waitcnt lgkmcnt(5)
	v_fma_f32 v3, v9, 4.0, -v3
	v_fma_f32 v4, v10, 4.0, -v4
	s_waitcnt lgkmcnt(4)
	v_fma_f32 v5, v11, 4.0, -v5
	v_fma_f32 v9, v12, 4.0, -v6
	;; [unrolled: 3-line block ×3, first 2 shown]
	s_waitcnt lgkmcnt(2)
	v_add_f32_e32 v8, v15, v3
	v_add_f32_e32 v7, v16, v4
	s_waitcnt lgkmcnt(1)
	v_add_f32_e32 v6, v17, v5
	v_add_f32_e32 v5, v18, v9
	;; [unrolled: 3-line block ×3, first 2 shown]
.LBB0_5:
	s_or_b32 exec_lo, exec_lo, s5
.LBB0_6:
	s_andn2_saveexec_b32 s4, s4
	s_cbranch_execz .LBB0_8
; %bb.7:
	v_lshl_add_u32 v25, v0, 2, 0
	ds_read2st64_b32 v[3:4], v25 offset0:12 offset1:14
	ds_read2st64_b32 v[5:6], v25 offset0:24 offset1:26
	;; [unrolled: 1-line block ×12, first 2 shown]
	s_waitcnt lgkmcnt(10)
	v_fma_f32 v3, v3, 2.0, -v5
	v_fma_f32 v4, v4, 2.0, -v6
	s_waitcnt lgkmcnt(8)
	v_fma_f32 v5, v7, 2.0, -v9
	v_fma_f32 v9, v8, 2.0, -v10
	;; [unrolled: 3-line block ×3, first 2 shown]
	s_waitcnt lgkmcnt(5)
	v_fmac_f32_e32 v3, -2.0, v15
	v_fmac_f32_e32 v4, -2.0, v16
	s_waitcnt lgkmcnt(4)
	v_fmac_f32_e32 v5, -2.0, v17
	v_fmac_f32_e32 v9, -2.0, v18
	;; [unrolled: 3-line block ×3, first 2 shown]
	s_waitcnt lgkmcnt(2)
	v_add_f32_e32 v8, v21, v3
	v_add_f32_e32 v7, v22, v4
	s_waitcnt lgkmcnt(1)
	v_add_f32_e32 v6, v23, v5
	v_add_f32_e32 v5, v24, v9
	;; [unrolled: 3-line block ×3, first 2 shown]
.LBB0_8:
	s_or_b32 exec_lo, exec_lo, s4
.LBB0_9:
	s_andn2_saveexec_b32 s1, s1
	s_cbranch_execz .LBB0_11
; %bb.10:
	v_lshl_add_u32 v25, v0, 2, 0
	ds_read2st64_b32 v[3:4], v25 offset0:12 offset1:14
	ds_read2st64_b32 v[5:6], v25 offset0:24 offset1:26
	;; [unrolled: 1-line block ×12, first 2 shown]
	s_waitcnt lgkmcnt(10)
	v_fma_f32 v3, v3, -2.0, -v5
	v_fma_f32 v4, v4, -2.0, -v6
	s_waitcnt lgkmcnt(8)
	v_fma_f32 v5, v7, -2.0, -v9
	v_fma_f32 v9, v8, -2.0, -v10
	;; [unrolled: 3-line block ×3, first 2 shown]
	s_waitcnt lgkmcnt(5)
	v_fmac_f32_e32 v3, 2.0, v15
	v_fmac_f32_e32 v4, 2.0, v16
	s_waitcnt lgkmcnt(4)
	v_fmac_f32_e32 v5, 2.0, v17
	v_fmac_f32_e32 v9, 2.0, v18
	;; [unrolled: 3-line block ×3, first 2 shown]
	s_waitcnt lgkmcnt(2)
	v_add_f32_e32 v8, v21, v3
	v_add_f32_e32 v7, v22, v4
	s_waitcnt lgkmcnt(1)
	v_add_f32_e32 v6, v23, v5
	v_add_f32_e32 v5, v24, v9
	;; [unrolled: 3-line block ×3, first 2 shown]
.LBB0_11:
	s_or_b32 exec_lo, exec_lo, s1
.LBB0_12:
	s_andn2_saveexec_b32 s0, s0
	s_cbranch_execz .LBB0_22
; %bb.13:
	s_mov_b32 s1, exec_lo
                                        ; implicit-def: $vgpr3
                                        ; implicit-def: $vgpr4
                                        ; implicit-def: $vgpr5
                                        ; implicit-def: $vgpr6
                                        ; implicit-def: $vgpr7
                                        ; implicit-def: $vgpr8
	v_cmpx_lt_i32_e32 0, v1
	s_xor_b32 s1, exec_lo, s1
	s_cbranch_execz .LBB0_19
; %bb.14:
	s_mov_b32 s4, exec_lo
                                        ; implicit-def: $vgpr3
                                        ; implicit-def: $vgpr4
                                        ; implicit-def: $vgpr5
                                        ; implicit-def: $vgpr6
                                        ; implicit-def: $vgpr7
                                        ; implicit-def: $vgpr8
	v_cmpx_lt_i32_e32 1, v1
	s_xor_b32 s4, exec_lo, s4
	s_cbranch_execz .LBB0_16
; %bb.15:
	v_lshl_add_u32 v25, v0, 2, 0
	ds_read2st64_b32 v[3:4], v25 offset0:24 offset1:26
	ds_read2st64_b32 v[5:6], v25 offset0:28 offset1:30
	;; [unrolled: 1-line block ×12, first 2 shown]
	s_waitcnt lgkmcnt(11)
	v_mul_f32_e32 v3, 4.0, v3
	v_mul_f32_e32 v4, 4.0, v4
	s_waitcnt lgkmcnt(10)
	v_mul_f32_e32 v5, 4.0, v5
	v_mul_f32_e32 v6, 4.0, v6
	;; [unrolled: 3-line block ×3, first 2 shown]
	s_waitcnt lgkmcnt(8)
	v_fma_f32 v3, v9, 4.0, -v3
	v_fma_f32 v4, v10, 4.0, -v4
	s_waitcnt lgkmcnt(7)
	v_fma_f32 v5, v11, 4.0, -v5
	v_fma_f32 v6, v12, 4.0, -v6
	;; [unrolled: 3-line block ×3, first 2 shown]
	s_waitcnt lgkmcnt(5)
	v_sub_f32_e32 v3, v3, v15
	v_sub_f32_e32 v4, v4, v16
	s_waitcnt lgkmcnt(4)
	v_sub_f32_e32 v5, v5, v17
	v_sub_f32_e32 v9, v6, v18
	;; [unrolled: 3-line block ×3, first 2 shown]
	s_waitcnt lgkmcnt(2)
	v_add_f32_e32 v8, v21, v3
	v_add_f32_e32 v7, v22, v4
	s_waitcnt lgkmcnt(1)
	v_add_f32_e32 v6, v23, v5
	v_add_f32_e32 v5, v24, v9
	;; [unrolled: 3-line block ×3, first 2 shown]
.LBB0_16:
	s_andn2_saveexec_b32 s4, s4
	s_cbranch_execz .LBB0_18
; %bb.17:
	v_lshl_add_u32 v25, v0, 2, 0
	ds_read2st64_b32 v[3:4], v25 offset0:24 offset1:26
	ds_read2st64_b32 v[5:6], v25 offset0:28 offset1:30
	;; [unrolled: 1-line block ×12, first 2 shown]
	s_waitcnt lgkmcnt(11)
	v_mul_f32_e32 v3, -4.0, v3
	v_mul_f32_e32 v4, -4.0, v4
	s_waitcnt lgkmcnt(10)
	v_mul_f32_e32 v5, -4.0, v5
	v_mul_f32_e32 v6, -4.0, v6
	s_waitcnt lgkmcnt(9)
	v_mul_f32_e32 v7, -4.0, v7
	v_mul_f32_e32 v8, -4.0, v8
	s_waitcnt lgkmcnt(8)
	v_fmac_f32_e32 v3, -4.0, v9
	v_fmac_f32_e32 v4, -4.0, v10
	s_waitcnt lgkmcnt(7)
	v_fmac_f32_e32 v5, -4.0, v11
	v_fmac_f32_e32 v6, -4.0, v12
	;; [unrolled: 3-line block ×3, first 2 shown]
	s_waitcnt lgkmcnt(5)
	v_add_f32_e32 v3, v15, v3
	v_add_f32_e32 v4, v16, v4
	s_waitcnt lgkmcnt(4)
	v_add_f32_e32 v5, v17, v5
	v_add_f32_e32 v9, v18, v6
	;; [unrolled: 3-line block ×6, first 2 shown]
.LBB0_18:
	s_or_b32 exec_lo, exec_lo, s4
.LBB0_19:
	s_andn2_saveexec_b32 s1, s1
	s_cbranch_execz .LBB0_21
; %bb.20:
	v_lshl_add_u32 v19, v0, 2, 0
	ds_read2st64_b32 v[3:4], v19 offset0:24 offset1:26
	ds_read2st64_b32 v[5:6], v19 offset0:28 offset1:30
	;; [unrolled: 1-line block ×3, first 2 shown]
	ds_read2st64_b32 v[9:10], v19 offset1:2
	ds_read2st64_b32 v[11:12], v19 offset0:4 offset1:6
	ds_read2st64_b32 v[13:14], v19 offset0:8 offset1:10
	;; [unrolled: 1-line block ×5, first 2 shown]
	s_waitcnt lgkmcnt(8)
	v_mul_f32_e32 v3, 0x40a00000, v3
	v_mul_f32_e32 v4, 0x40a00000, v4
	s_waitcnt lgkmcnt(7)
	v_mul_f32_e32 v5, 0x40a00000, v5
	v_mul_f32_e32 v6, 0x40a00000, v6
	;; [unrolled: 3-line block ×3, first 2 shown]
	s_waitcnt lgkmcnt(5)
	v_fma_f32 v3, v9, 4.0, -v3
	v_fma_f32 v4, v10, 4.0, -v4
	s_waitcnt lgkmcnt(4)
	v_fma_f32 v5, v11, 4.0, -v5
	v_fma_f32 v9, v12, 4.0, -v6
	;; [unrolled: 3-line block ×3, first 2 shown]
	s_waitcnt lgkmcnt(2)
	v_add_f32_e32 v8, v15, v3
	v_add_f32_e32 v7, v16, v4
	s_waitcnt lgkmcnt(1)
	v_add_f32_e32 v6, v17, v5
	v_add_f32_e32 v5, v18, v9
	;; [unrolled: 3-line block ×3, first 2 shown]
.LBB0_21:
	s_or_b32 exec_lo, exec_lo, s1
.LBB0_22:
	s_or_b32 exec_lo, exec_lo, s0
	v_mul_u32_u24_e32 v9, 0xa00, v1
	v_lshlrev_b32_e32 v10, 2, v0
	s_mov_b32 s0, exec_lo
	s_barrier
	buffer_gl0_inv
	v_add3_u32 v2, v2, v9, v10
	ds_write2st64_b32 v2, v8, v7 offset1:2
	ds_write2st64_b32 v2, v6, v5 offset0:4 offset1:6
	ds_write2st64_b32 v2, v4, v3 offset0:8 offset1:10
	s_waitcnt lgkmcnt(0)
	s_barrier
	buffer_gl0_inv
                                        ; implicit-def: $vgpr2
                                        ; implicit-def: $vgpr3
                                        ; implicit-def: $vgpr4
                                        ; implicit-def: $vgpr5
                                        ; implicit-def: $vgpr6
                                        ; implicit-def: $vgpr7
	v_cmpx_lt_i32_e32 2, v1
	s_xor_b32 s0, exec_lo, s0
	s_cbranch_execz .LBB0_34
; %bb.23:
	s_mov_b32 s1, exec_lo
                                        ; implicit-def: $vgpr2
                                        ; implicit-def: $vgpr3
                                        ; implicit-def: $vgpr4
                                        ; implicit-def: $vgpr5
                                        ; implicit-def: $vgpr6
                                        ; implicit-def: $vgpr7
	v_cmpx_lt_i32_e32 3, v1
	s_xor_b32 s1, exec_lo, s1
	s_cbranch_execz .LBB0_31
; %bb.24:
	s_mov_b32 s4, exec_lo
	;; [unrolled: 11-line block ×3, first 2 shown]
	v_cmpx_ne_u32_e32 5, v1
	s_xor_b32 s5, exec_lo, s5
	s_or_saveexec_b32 s5, s5
	v_mov_b32_e32 v2, 0
	v_mov_b32_e32 v3, 0
	;; [unrolled: 1-line block ×6, first 2 shown]
	s_xor_b32 exec_lo, exec_lo, s5
	s_cbranch_execz .LBB0_27
; %bb.26:
	v_lshl_add_u32 v18, v0, 2, 0
	ds_read2st64_b32 v[2:3], v18 offset0:2 offset1:6
	ds_read2st64_b32 v[4:5], v18 offset0:18 offset1:22
	;; [unrolled: 1-line block ×9, first 2 shown]
	s_waitcnt lgkmcnt(8)
	v_mul_f32_e32 v3, 0x40a00000, v3
	s_waitcnt lgkmcnt(7)
	v_mul_f32_e32 v4, 0x40a00000, v4
	;; [unrolled: 2-line block ×6, first 2 shown]
	v_fma_f32 v2, v2, 4.0, -v3
	s_waitcnt lgkmcnt(2)
	v_fma_f32 v3, v15, 4.0, -v4
	v_fma_f32 v4, v6, 4.0, -v7
	s_waitcnt lgkmcnt(1)
	v_fma_f32 v8, v17, 4.0, -v8
	;; [unrolled: 3-line block ×3, first 2 shown]
	v_add_f32_e32 v7, v14, v2
	v_add_f32_e32 v6, v5, v3
	;; [unrolled: 1-line block ×6, first 2 shown]
.LBB0_27:
	s_or_b32 exec_lo, exec_lo, s5
.LBB0_28:
	s_andn2_saveexec_b32 s4, s4
	s_cbranch_execz .LBB0_30
; %bb.29:
	v_lshl_add_u32 v24, v0, 2, 0
	ds_read2st64_b32 v[2:3], v24 offset0:2 offset1:4
	ds_read2st64_b32 v[4:5], v24 offset0:14 offset1:16
	ds_read2st64_b32 v[6:7], v24 offset0:26 offset1:28
	ds_read2st64_b32 v[8:9], v24 offset0:38 offset1:40
	ds_read2st64_b32 v[10:11], v24 offset0:50 offset1:52
	ds_read2st64_b32 v[12:13], v24 offset0:62 offset1:64
	ds_read2st64_b32 v[14:15], v24 offset0:6 offset1:8
	ds_read2st64_b32 v[16:17], v24 offset0:18 offset1:20
	ds_read2st64_b32 v[18:19], v24 offset0:30 offset1:32
	ds_read2st64_b32 v[20:21], v24 offset0:42 offset1:44
	ds_read2st64_b32 v[22:23], v24 offset0:54 offset1:56
	ds_read2st64_b32 v[24:25], v24 offset0:66 offset1:68
	s_waitcnt lgkmcnt(11)
	v_fma_f32 v2, v2, 2.0, -v3
	s_waitcnt lgkmcnt(10)
	v_fma_f32 v3, v4, 2.0, -v5
	s_waitcnt lgkmcnt(9)
	v_fma_f32 v4, v6, 2.0, -v7
	s_waitcnt lgkmcnt(8)
	v_fma_f32 v8, v8, 2.0, -v9
	s_waitcnt lgkmcnt(7)
	v_fma_f32 v9, v10, 2.0, -v11
	s_waitcnt lgkmcnt(6)
	v_fma_f32 v10, v12, 2.0, -v13
	s_waitcnt lgkmcnt(5)
	v_fmac_f32_e32 v2, -2.0, v14
	s_waitcnt lgkmcnt(4)
	v_fmac_f32_e32 v3, -2.0, v16
	;; [unrolled: 2-line block ×6, first 2 shown]
	v_add_f32_e32 v7, v15, v2
	v_add_f32_e32 v6, v17, v3
	;; [unrolled: 1-line block ×6, first 2 shown]
.LBB0_30:
	s_or_b32 exec_lo, exec_lo, s4
.LBB0_31:
	s_andn2_saveexec_b32 s1, s1
	s_cbranch_execz .LBB0_33
; %bb.32:
	v_lshl_add_u32 v24, v0, 2, 0
	ds_read2st64_b32 v[2:3], v24 offset0:2 offset1:4
	ds_read2st64_b32 v[4:5], v24 offset0:14 offset1:16
	ds_read2st64_b32 v[6:7], v24 offset0:26 offset1:28
	ds_read2st64_b32 v[8:9], v24 offset0:38 offset1:40
	ds_read2st64_b32 v[10:11], v24 offset0:50 offset1:52
	ds_read2st64_b32 v[12:13], v24 offset0:62 offset1:64
	ds_read2st64_b32 v[14:15], v24 offset0:6 offset1:8
	ds_read2st64_b32 v[16:17], v24 offset0:18 offset1:20
	ds_read2st64_b32 v[18:19], v24 offset0:30 offset1:32
	ds_read2st64_b32 v[20:21], v24 offset0:42 offset1:44
	ds_read2st64_b32 v[22:23], v24 offset0:54 offset1:56
	ds_read2st64_b32 v[24:25], v24 offset0:66 offset1:68
	s_waitcnt lgkmcnt(11)
	v_fma_f32 v2, v2, -2.0, -v3
	s_waitcnt lgkmcnt(10)
	v_fma_f32 v3, v4, -2.0, -v5
	;; [unrolled: 2-line block ×6, first 2 shown]
	s_waitcnt lgkmcnt(5)
	v_fmac_f32_e32 v2, 2.0, v14
	s_waitcnt lgkmcnt(4)
	v_fmac_f32_e32 v3, 2.0, v16
	;; [unrolled: 2-line block ×6, first 2 shown]
	v_add_f32_e32 v7, v15, v2
	v_add_f32_e32 v6, v17, v3
	;; [unrolled: 1-line block ×6, first 2 shown]
.LBB0_33:
	s_or_b32 exec_lo, exec_lo, s1
.LBB0_34:
	s_andn2_saveexec_b32 s0, s0
	s_cbranch_execz .LBB0_44
; %bb.35:
	s_mov_b32 s1, exec_lo
                                        ; implicit-def: $vgpr2
                                        ; implicit-def: $vgpr3
                                        ; implicit-def: $vgpr4
                                        ; implicit-def: $vgpr5
                                        ; implicit-def: $vgpr6
                                        ; implicit-def: $vgpr7
	v_cmpx_lt_i32_e32 0, v1
	s_xor_b32 s1, exec_lo, s1
	s_cbranch_execz .LBB0_41
; %bb.36:
	s_mov_b32 s4, exec_lo
                                        ; implicit-def: $vgpr2
                                        ; implicit-def: $vgpr3
                                        ; implicit-def: $vgpr4
                                        ; implicit-def: $vgpr5
                                        ; implicit-def: $vgpr6
                                        ; implicit-def: $vgpr7
	v_cmpx_lt_i32_e32 1, v1
	s_xor_b32 s4, exec_lo, s4
	s_cbranch_execz .LBB0_38
; %bb.37:
	v_lshl_add_u32 v24, v0, 2, 0
	ds_read2st64_b32 v[2:3], v24 offset0:2 offset1:4
	ds_read2st64_b32 v[4:5], v24 offset0:14 offset1:16
	;; [unrolled: 1-line block ×12, first 2 shown]
	s_waitcnt lgkmcnt(11)
	v_mul_f32_e32 v3, 4.0, v3
	s_waitcnt lgkmcnt(10)
	v_mul_f32_e32 v5, 4.0, v5
	;; [unrolled: 2-line block ×6, first 2 shown]
	v_fma_f32 v2, v2, 4.0, -v3
	v_fma_f32 v3, v4, 4.0, -v5
	;; [unrolled: 1-line block ×6, first 2 shown]
	s_waitcnt lgkmcnt(5)
	v_sub_f32_e32 v2, v2, v14
	s_waitcnt lgkmcnt(4)
	v_sub_f32_e32 v3, v3, v16
	;; [unrolled: 2-line block ×6, first 2 shown]
	v_add_f32_e32 v7, v15, v2
	v_add_f32_e32 v6, v17, v3
	;; [unrolled: 1-line block ×6, first 2 shown]
.LBB0_38:
	s_andn2_saveexec_b32 s4, s4
	s_cbranch_execz .LBB0_40
; %bb.39:
	v_lshl_add_u32 v24, v0, 2, 0
	ds_read2st64_b32 v[2:3], v24 offset0:2 offset1:4
	ds_read2st64_b32 v[4:5], v24 offset0:14 offset1:16
	;; [unrolled: 1-line block ×12, first 2 shown]
	s_waitcnt lgkmcnt(11)
	v_mul_f32_e32 v3, -4.0, v3
	s_waitcnt lgkmcnt(10)
	v_mul_f32_e32 v5, -4.0, v5
	;; [unrolled: 2-line block ×6, first 2 shown]
	v_fmac_f32_e32 v3, -4.0, v2
	v_fmac_f32_e32 v5, -4.0, v4
	;; [unrolled: 1-line block ×6, first 2 shown]
	s_waitcnt lgkmcnt(5)
	v_add_f32_e32 v2, v14, v3
	s_waitcnt lgkmcnt(4)
	v_add_f32_e32 v3, v16, v5
	;; [unrolled: 2-line block ×6, first 2 shown]
	v_add_f32_e32 v7, v15, v2
	v_add_f32_e32 v6, v17, v3
	;; [unrolled: 1-line block ×6, first 2 shown]
.LBB0_40:
	s_or_b32 exec_lo, exec_lo, s4
.LBB0_41:
	s_andn2_saveexec_b32 s1, s1
	s_cbranch_execz .LBB0_43
; %bb.42:
	v_lshl_add_u32 v18, v0, 2, 0
	ds_read2st64_b32 v[2:3], v18 offset1:4
	ds_read2st64_b32 v[4:5], v18 offset0:16 offset1:20
	ds_read2st64_b32 v[6:7], v18 offset0:24 offset1:28
	;; [unrolled: 1-line block ×8, first 2 shown]
	s_waitcnt lgkmcnt(8)
	v_mul_f32_e32 v3, 0x40a00000, v3
	s_waitcnt lgkmcnt(7)
	v_mul_f32_e32 v4, 0x40a00000, v4
	;; [unrolled: 2-line block ×6, first 2 shown]
	v_fma_f32 v2, v2, 4.0, -v3
	s_waitcnt lgkmcnt(2)
	v_fma_f32 v3, v15, 4.0, -v4
	v_fma_f32 v4, v6, 4.0, -v7
	s_waitcnt lgkmcnt(1)
	v_fma_f32 v8, v17, 4.0, -v8
	;; [unrolled: 3-line block ×3, first 2 shown]
	v_add_f32_e32 v7, v14, v2
	v_add_f32_e32 v6, v5, v3
	;; [unrolled: 1-line block ×6, first 2 shown]
.LBB0_43:
	s_or_b32 exec_lo, exec_lo, s1
.LBB0_44:
	s_or_b32 exec_lo, exec_lo, s0
	v_lshlrev_b32_e32 v8, 11, v1
	s_lshl_b32 s0, s6, 9
	s_lshl_b32 s1, s7, 7
	v_mov_b32_e32 v1, 0
	s_add_i32 s0, s0, s1
	v_add3_u32 v0, s0, v0, v8
	s_barrier
	v_mov_b32_e32 v11, v1
	v_mov_b32_e32 v13, v1
	;; [unrolled: 1-line block ×3, first 2 shown]
	v_lshlrev_b64 v[8:9], 2, v[0:1]
	v_add_nc_u32_e32 v10, 0x3000, v0
	v_add_nc_u32_e32 v12, 0x6000, v0
	v_add_nc_u32_e32 v14, 0x9000, v0
	buffer_gl0_inv
	v_add_co_u32 v8, vcc_lo, s2, v8
	v_lshlrev_b64 v[10:11], 2, v[10:11]
	v_add_co_ci_u32_e64 v9, null, s3, v9, vcc_lo
	v_lshlrev_b64 v[12:13], 2, v[12:13]
	global_store_dword v[8:9], v7, off
	v_add_co_u32 v7, vcc_lo, s2, v10
	v_lshlrev_b64 v[9:10], 2, v[14:15]
	v_add_nc_u32_e32 v14, 0xc000, v0
	v_add_nc_u32_e32 v0, 0xf000, v0
	v_add_co_ci_u32_e64 v8, null, s3, v11, vcc_lo
	v_add_co_u32 v11, vcc_lo, s2, v12
	v_add_co_ci_u32_e64 v12, null, s3, v13, vcc_lo
	v_lshlrev_b64 v[13:14], 2, v[14:15]
	v_lshlrev_b64 v[0:1], 2, v[0:1]
	v_add_co_u32 v9, vcc_lo, s2, v9
	v_add_co_ci_u32_e64 v10, null, s3, v10, vcc_lo
	v_add_co_u32 v13, vcc_lo, s2, v13
	v_add_co_ci_u32_e64 v14, null, s3, v14, vcc_lo
	;; [unrolled: 2-line block ×3, first 2 shown]
	global_store_dword v[7:8], v6, off
	global_store_dword v[11:12], v5, off
	;; [unrolled: 1-line block ×5, first 2 shown]
	s_endpgm
	.section	.rodata,"a",@progbits
	.p2align	6, 0x0
	.amdhsa_kernel _Z24kernel_128_winograd_BtdBPKfPf
		.amdhsa_group_segment_fixed_size 0
		.amdhsa_private_segment_fixed_size 0
		.amdhsa_kernarg_size 16
		.amdhsa_user_sgpr_count 6
		.amdhsa_user_sgpr_private_segment_buffer 1
		.amdhsa_user_sgpr_dispatch_ptr 0
		.amdhsa_user_sgpr_queue_ptr 0
		.amdhsa_user_sgpr_kernarg_segment_ptr 1
		.amdhsa_user_sgpr_dispatch_id 0
		.amdhsa_user_sgpr_flat_scratch_init 0
		.amdhsa_user_sgpr_private_segment_size 0
		.amdhsa_wavefront_size32 1
		.amdhsa_uses_dynamic_stack 0
		.amdhsa_system_sgpr_private_segment_wavefront_offset 0
		.amdhsa_system_sgpr_workgroup_id_x 1
		.amdhsa_system_sgpr_workgroup_id_y 1
		.amdhsa_system_sgpr_workgroup_id_z 0
		.amdhsa_system_sgpr_workgroup_info 0
		.amdhsa_system_vgpr_workitem_id 1
		.amdhsa_next_free_vgpr 27
		.amdhsa_next_free_sgpr 8
		.amdhsa_reserve_vcc 1
		.amdhsa_reserve_flat_scratch 0
		.amdhsa_float_round_mode_32 0
		.amdhsa_float_round_mode_16_64 0
		.amdhsa_float_denorm_mode_32 3
		.amdhsa_float_denorm_mode_16_64 3
		.amdhsa_dx10_clamp 1
		.amdhsa_ieee_mode 1
		.amdhsa_fp16_overflow 0
		.amdhsa_workgroup_processor_mode 1
		.amdhsa_memory_ordered 1
		.amdhsa_forward_progress 1
		.amdhsa_shared_vgpr_count 0
		.amdhsa_exception_fp_ieee_invalid_op 0
		.amdhsa_exception_fp_denorm_src 0
		.amdhsa_exception_fp_ieee_div_zero 0
		.amdhsa_exception_fp_ieee_overflow 0
		.amdhsa_exception_fp_ieee_underflow 0
		.amdhsa_exception_fp_ieee_inexact 0
		.amdhsa_exception_int_div_zero 0
	.end_amdhsa_kernel
	.text
.Lfunc_end0:
	.size	_Z24kernel_128_winograd_BtdBPKfPf, .Lfunc_end0-_Z24kernel_128_winograd_BtdBPKfPf
                                        ; -- End function
	.set _Z24kernel_128_winograd_BtdBPKfPf.num_vgpr, 27
	.set _Z24kernel_128_winograd_BtdBPKfPf.num_agpr, 0
	.set _Z24kernel_128_winograd_BtdBPKfPf.numbered_sgpr, 8
	.set _Z24kernel_128_winograd_BtdBPKfPf.num_named_barrier, 0
	.set _Z24kernel_128_winograd_BtdBPKfPf.private_seg_size, 0
	.set _Z24kernel_128_winograd_BtdBPKfPf.uses_vcc, 1
	.set _Z24kernel_128_winograd_BtdBPKfPf.uses_flat_scratch, 0
	.set _Z24kernel_128_winograd_BtdBPKfPf.has_dyn_sized_stack, 0
	.set _Z24kernel_128_winograd_BtdBPKfPf.has_recursion, 0
	.set _Z24kernel_128_winograd_BtdBPKfPf.has_indirect_call, 0
	.section	.AMDGPU.csdata,"",@progbits
; Kernel info:
; codeLenInByte = 3980
; TotalNumSgprs: 10
; NumVgprs: 27
; ScratchSize: 0
; MemoryBound: 0
; FloatMode: 240
; IeeeMode: 1
; LDSByteSize: 0 bytes/workgroup (compile time only)
; SGPRBlocks: 0
; VGPRBlocks: 3
; NumSGPRsForWavesPerEU: 10
; NumVGPRsForWavesPerEU: 27
; Occupancy: 16
; WaveLimiterHint : 1
; COMPUTE_PGM_RSRC2:SCRATCH_EN: 0
; COMPUTE_PGM_RSRC2:USER_SGPR: 6
; COMPUTE_PGM_RSRC2:TRAP_HANDLER: 0
; COMPUTE_PGM_RSRC2:TGID_X_EN: 1
; COMPUTE_PGM_RSRC2:TGID_Y_EN: 1
; COMPUTE_PGM_RSRC2:TGID_Z_EN: 0
; COMPUTE_PGM_RSRC2:TIDIG_COMP_CNT: 1
	.text
	.protected	_Z24kernel_128_winograd_AtIAPKfS0_S0_Pf ; -- Begin function _Z24kernel_128_winograd_AtIAPKfS0_S0_Pf
	.globl	_Z24kernel_128_winograd_AtIAPKfS0_S0_Pf
	.p2align	8
	.type	_Z24kernel_128_winograd_AtIAPKfS0_S0_Pf,@function
_Z24kernel_128_winograd_AtIAPKfS0_S0_Pf: ; @_Z24kernel_128_winograd_AtIAPKfS0_S0_Pf
; %bb.0:
	v_mad_u32_u24 v6, v0, 6, v1
	s_load_dwordx8 s[12:19], s[4:5], 0x0
	s_lshl_b32 s0, s7, 7
	s_lshl_b32 s1, s6, 9
	s_add_i32 s0, s0, s8
	v_lshlrev_b32_e32 v2, 11, v6
	s_ashr_i32 s9, s8, 31
	v_mov_b32_e32 v8, 0
	v_add3_u32 v2, s0, s1, v2
	s_lshl_b64 s[0:1], s[8:9], 2
	v_ashrrev_i32_e32 v3, 31, v2
	v_lshlrev_b64 v[2:3], 2, v[2:3]
	s_waitcnt lgkmcnt(0)
	s_add_u32 s2, s14, s0
	s_addc_u32 s3, s15, s1
	s_add_u32 s0, s16, s0
	s_addc_u32 s1, s17, s1
	v_add_co_u32 v2, vcc_lo, s12, v2
	v_add_co_ci_u32_e64 v3, null, s13, v3, vcc_lo
	global_load_dword v7, v[2:3], off
	s_load_dword s2, s[2:3], 0x0
	s_load_dword s0, s[0:1], 0x0
	v_lshl_add_u32 v3, v6, 2, 8
	v_mul_u32_u24_e32 v2, 6, v0
	s_waitcnt lgkmcnt(0)
	v_mov_b32_e32 v4, s2
	v_mov_b32_e32 v5, s0
	s_mov_b32 s0, exec_lo
	ds_write_b64 v8, v[4:5]
	s_waitcnt vmcnt(0)
	ds_write_b32 v3, v7
	s_waitcnt lgkmcnt(0)
	s_barrier
	buffer_gl0_inv
                                        ; implicit-def: $vgpr4
	v_cmpx_lt_i32_e32 1, v0
	s_xor_b32 s0, exec_lo, s0
	s_cbranch_execz .LBB1_8
; %bb.1:
	s_mov_b32 s1, exec_lo
                                        ; implicit-def: $vgpr4
	v_cmpx_lt_i32_e32 2, v0
	s_xor_b32 s1, exec_lo, s1
	s_cbranch_execz .LBB1_5
; %bb.2:
	v_mov_b32_e32 v4, 0
	s_mov_b32 s2, exec_lo
	v_cmpx_eq_u32_e32 3, v0
	s_cbranch_execz .LBB1_4
; %bb.3:
	v_lshl_add_u32 v8, v1, 2, 8
	ds_read2_b32 v[4:5], v8 offset0:6 offset1:12
	ds_read2_b32 v[6:7], v8 offset0:18 offset1:24
	ds_read_b32 v8, v8 offset:120
	s_waitcnt lgkmcnt(2)
	v_sub_f32_e32 v4, v4, v5
	s_waitcnt lgkmcnt(1)
	v_fmamk_f32 v4, v6, 0x41000000, v4
	v_fmamk_f32 v4, v7, 0xc1000000, v4
	s_waitcnt lgkmcnt(0)
	v_add_f32_e32 v4, v8, v4
.LBB1_4:
	s_or_b32 exec_lo, exec_lo, s2
.LBB1_5:
	s_andn2_saveexec_b32 s1, s1
	s_cbranch_execz .LBB1_7
; %bb.6:
	v_lshl_add_u32 v6, v1, 2, 8
	ds_read2_b32 v[4:5], v6 offset0:6 offset1:12
	ds_read2_b32 v[6:7], v6 offset0:18 offset1:24
	s_waitcnt lgkmcnt(1)
	v_add_f32_e32 v4, v4, v5
	s_waitcnt lgkmcnt(0)
	v_fmac_f32_e32 v4, 4.0, v6
	v_fmac_f32_e32 v4, 4.0, v7
.LBB1_7:
	s_or_b32 exec_lo, exec_lo, s1
.LBB1_8:
	s_andn2_saveexec_b32 s0, s0
	s_cbranch_execz .LBB1_14
; %bb.9:
	v_lshl_add_u32 v5, v1, 2, 8
	s_mov_b32 s1, exec_lo
                                        ; implicit-def: $vgpr4
	v_cmpx_lt_i32_e32 0, v0
	s_xor_b32 s1, exec_lo, s1
	s_cbranch_execz .LBB1_11
; %bb.10:
	ds_read2_b32 v[6:7], v5 offset0:6 offset1:12
	ds_read2_b32 v[8:9], v5 offset0:18 offset1:24
                                        ; implicit-def: $vgpr5
	s_waitcnt lgkmcnt(1)
	v_sub_f32_e32 v4, v6, v7
	s_waitcnt lgkmcnt(0)
	v_fmac_f32_e32 v4, 2.0, v8
	v_fmac_f32_e32 v4, -2.0, v9
.LBB1_11:
	s_andn2_saveexec_b32 s1, s1
	s_cbranch_execz .LBB1_13
; %bb.12:
	ds_read2_b32 v[6:7], v5 offset1:6
	ds_read2_b32 v[8:9], v5 offset0:12 offset1:18
	ds_read_b32 v4, v5 offset:96
	s_waitcnt lgkmcnt(2)
	v_add_f32_e32 v5, v6, v7
	s_waitcnt lgkmcnt(1)
	v_add_f32_e32 v5, v5, v8
	v_add_f32_e32 v5, v5, v9
	s_waitcnt lgkmcnt(0)
	v_add_f32_e32 v4, v5, v4
.LBB1_13:
	s_or_b32 exec_lo, exec_lo, s1
.LBB1_14:
	s_or_b32 exec_lo, exec_lo, s0
	s_barrier
	buffer_gl0_inv
	ds_write_b32 v3, v4
	s_waitcnt lgkmcnt(0)
	s_barrier
	buffer_gl0_inv
	s_mov_b32 s0, exec_lo
	v_cmpx_gt_u32_e32 4, v0
	s_cbranch_execz .LBB1_20
; %bb.15:
	v_cmp_gt_u32_e32 vcc_lo, 2, v0
	s_cmp_lg_u32 s6, 3
	s_cselect_b32 s0, -1, 0
	s_or_b32 s0, s0, vcc_lo
	s_and_b32 exec_lo, exec_lo, s0
	s_cbranch_execz .LBB1_20
; %bb.16:
	s_mov_b32 s1, 0
	s_mov_b32 s0, exec_lo
                                        ; implicit-def: $vgpr4
                                        ; implicit-def: $vgpr3
	v_cmpx_lt_i32_e32 1, v1
	s_xor_b32 s0, exec_lo, s0
	s_cbranch_execnz .LBB1_21
; %bb.17:
	s_andn2_saveexec_b32 s0, s0
	s_cbranch_execnz .LBB1_33
.LBB1_18:
	s_or_b32 exec_lo, exec_lo, s0
	s_and_b32 exec_lo, exec_lo, s1
	s_cbranch_execz .LBB1_20
.LBB1_19:
	v_mov_b32_e32 v1, 0
	s_lshl_b32 s0, s6, 13
	s_lshl_b32 s1, s7, 9
	v_lshl_add_u32 v0, v0, 11, s0
	ds_read_b32 v2, v1
	v_add3_u32 v1, s1, s8, v4
	v_add3_u32 v0, v0, v1, 0x800
	v_ashrrev_i32_e32 v1, 31, v0
	v_lshlrev_b64 v[0:1], 2, v[0:1]
	s_waitcnt lgkmcnt(0)
	v_add_f32_e32 v2, v2, v3
	v_add_co_u32 v0, vcc_lo, s18, v0
	v_add_co_ci_u32_e64 v1, null, s19, v1, vcc_lo
	v_max_f32_e32 v2, 0, v2
	global_store_dword v[0:1], v2, off
.LBB1_20:
	s_endpgm
.LBB1_21:
	s_mov_b32 s2, exec_lo
                                        ; implicit-def: $vgpr3
	v_cmpx_lt_i32_e32 2, v1
	s_xor_b32 s2, exec_lo, s2
	s_cbranch_execz .LBB1_28
; %bb.22:
	s_mov_b32 s3, 0
	s_mov_b32 s1, exec_lo
                                        ; implicit-def: $vgpr3
	v_cmpx_eq_u32_e32 3, v1
	s_cbranch_execz .LBB1_27
; %bb.23:
	s_cmp_lg_u32 s7, 3
	s_cbranch_scc0 .LBB1_25
; %bb.24:
	v_lshl_add_u32 v5, v2, 2, 8
	v_mov_b32_e32 v6, 0
	s_mov_b32 s3, -1
	ds_read2_b32 v[1:2], v5 offset0:1 offset1:2
	ds_read2_b32 v[3:4], v5 offset0:3 offset1:4
	ds_read_b32 v5, v5 offset:20
	ds_read_b32 v6, v6 offset:4
	s_waitcnt lgkmcnt(3)
	v_sub_f32_e32 v1, v1, v2
	s_waitcnt lgkmcnt(2)
	v_fmamk_f32 v1, v3, 0x41000000, v1
	v_fmamk_f32 v1, v4, 0xc1000000, v1
	s_waitcnt lgkmcnt(1)
	v_add_f32_e32 v1, v5, v1
	s_waitcnt lgkmcnt(0)
	v_mul_f32_e32 v3, v6, v1
	s_branch .LBB1_26
.LBB1_25:
                                        ; implicit-def: $vgpr3
.LBB1_26:
	s_and_b32 s3, s3, exec_lo
.LBB1_27:
	s_or_b32 exec_lo, exec_lo, s1
	s_and_b32 s1, s3, exec_lo
                                        ; implicit-def: $vgpr2
.LBB1_28:
	s_or_saveexec_b32 s2, s2
	v_mov_b32_e32 v4, 0x200
	s_xor_b32 exec_lo, exec_lo, s2
	s_cbranch_execz .LBB1_32
; %bb.29:
	s_cmp_lg_u32 s7, 3
	s_mov_b32 s3, s1
                                        ; implicit-def: $vgpr3
	s_cbranch_scc0 .LBB1_31
; %bb.30:
	v_lshl_add_u32 v3, v2, 2, 8
	v_mov_b32_e32 v5, 0
	s_or_b32 s3, s1, exec_lo
	ds_read2_b32 v[1:2], v3 offset0:1 offset1:2
	ds_read2_b32 v[3:4], v3 offset0:3 offset1:4
	ds_read_b32 v5, v5 offset:4
	s_waitcnt lgkmcnt(2)
	v_add_f32_e32 v1, v1, v2
	s_waitcnt lgkmcnt(1)
	v_fmac_f32_e32 v1, 4.0, v3
	v_fmac_f32_e32 v1, 4.0, v4
	s_waitcnt lgkmcnt(0)
	v_mul_f32_e32 v3, v5, v1
.LBB1_31:
	v_mov_b32_e32 v4, 0x180
	s_andn2_b32 s1, s1, exec_lo
	s_and_b32 s3, s3, exec_lo
	s_or_b32 s1, s1, s3
.LBB1_32:
	s_or_b32 exec_lo, exec_lo, s2
	s_and_b32 s1, s1, exec_lo
                                        ; implicit-def: $vgpr1
                                        ; implicit-def: $vgpr2
	s_andn2_saveexec_b32 s0, s0
	s_cbranch_execz .LBB1_18
.LBB1_33:
	v_cmp_lt_i32_e32 vcc_lo, 0, v1
	v_lshl_add_u32 v1, v2, 2, 8
                                        ; implicit-def: $vgpr3
	s_and_saveexec_b32 s2, vcc_lo
	s_xor_b32 s2, exec_lo, s2
	s_cbranch_execz .LBB1_35
; %bb.34:
	ds_read2_b32 v[2:3], v1 offset0:1 offset1:2
	ds_read2_b32 v[4:5], v1 offset0:3 offset1:4
	v_mov_b32_e32 v1, 0
	ds_read_b32 v1, v1 offset:4
	s_waitcnt lgkmcnt(2)
	v_sub_f32_e32 v2, v2, v3
	s_waitcnt lgkmcnt(1)
	v_fmac_f32_e32 v2, 2.0, v4
	v_fmac_f32_e32 v2, -2.0, v5
	s_waitcnt lgkmcnt(0)
	v_mul_f32_e32 v3, v1, v2
                                        ; implicit-def: $vgpr1
.LBB1_35:
	s_or_saveexec_b32 s2, s2
	v_mov_b32_e32 v4, 0x100
	s_xor_b32 exec_lo, exec_lo, s2
	s_cbranch_execz .LBB1_37
; %bb.36:
	ds_read2_b32 v[2:3], v1 offset1:1
	ds_read2_b32 v[4:5], v1 offset0:2 offset1:3
	v_mov_b32_e32 v6, 0
	ds_read_b32 v1, v1 offset:16
	ds_read_b32 v6, v6 offset:4
	s_waitcnt lgkmcnt(3)
	v_add_f32_e32 v2, v2, v3
	s_waitcnt lgkmcnt(2)
	v_add_f32_e32 v2, v2, v4
	v_mov_b32_e32 v4, 0x80
	v_add_f32_e32 v2, v2, v5
	s_waitcnt lgkmcnt(1)
	v_add_f32_e32 v1, v2, v1
	s_waitcnt lgkmcnt(0)
	v_mul_f32_e32 v3, v6, v1
.LBB1_37:
	s_or_b32 exec_lo, exec_lo, s2
	s_or_b32 s1, s1, exec_lo
	s_or_b32 exec_lo, exec_lo, s0
	s_and_b32 exec_lo, exec_lo, s1
	s_cbranch_execnz .LBB1_19
	s_branch .LBB1_20
	.section	.rodata,"a",@progbits
	.p2align	6, 0x0
	.amdhsa_kernel _Z24kernel_128_winograd_AtIAPKfS0_S0_Pf
		.amdhsa_group_segment_fixed_size 8
		.amdhsa_private_segment_fixed_size 0
		.amdhsa_kernarg_size 32
		.amdhsa_user_sgpr_count 6
		.amdhsa_user_sgpr_private_segment_buffer 1
		.amdhsa_user_sgpr_dispatch_ptr 0
		.amdhsa_user_sgpr_queue_ptr 0
		.amdhsa_user_sgpr_kernarg_segment_ptr 1
		.amdhsa_user_sgpr_dispatch_id 0
		.amdhsa_user_sgpr_flat_scratch_init 0
		.amdhsa_user_sgpr_private_segment_size 0
		.amdhsa_wavefront_size32 1
		.amdhsa_uses_dynamic_stack 0
		.amdhsa_system_sgpr_private_segment_wavefront_offset 0
		.amdhsa_system_sgpr_workgroup_id_x 1
		.amdhsa_system_sgpr_workgroup_id_y 1
		.amdhsa_system_sgpr_workgroup_id_z 1
		.amdhsa_system_sgpr_workgroup_info 0
		.amdhsa_system_vgpr_workitem_id 1
		.amdhsa_next_free_vgpr 10
		.amdhsa_next_free_sgpr 20
		.amdhsa_reserve_vcc 1
		.amdhsa_reserve_flat_scratch 0
		.amdhsa_float_round_mode_32 0
		.amdhsa_float_round_mode_16_64 0
		.amdhsa_float_denorm_mode_32 3
		.amdhsa_float_denorm_mode_16_64 3
		.amdhsa_dx10_clamp 1
		.amdhsa_ieee_mode 1
		.amdhsa_fp16_overflow 0
		.amdhsa_workgroup_processor_mode 1
		.amdhsa_memory_ordered 1
		.amdhsa_forward_progress 1
		.amdhsa_shared_vgpr_count 0
		.amdhsa_exception_fp_ieee_invalid_op 0
		.amdhsa_exception_fp_denorm_src 0
		.amdhsa_exception_fp_ieee_div_zero 0
		.amdhsa_exception_fp_ieee_overflow 0
		.amdhsa_exception_fp_ieee_underflow 0
		.amdhsa_exception_fp_ieee_inexact 0
		.amdhsa_exception_int_div_zero 0
	.end_amdhsa_kernel
	.text
.Lfunc_end1:
	.size	_Z24kernel_128_winograd_AtIAPKfS0_S0_Pf, .Lfunc_end1-_Z24kernel_128_winograd_AtIAPKfS0_S0_Pf
                                        ; -- End function
	.set _Z24kernel_128_winograd_AtIAPKfS0_S0_Pf.num_vgpr, 10
	.set _Z24kernel_128_winograd_AtIAPKfS0_S0_Pf.num_agpr, 0
	.set _Z24kernel_128_winograd_AtIAPKfS0_S0_Pf.numbered_sgpr, 20
	.set _Z24kernel_128_winograd_AtIAPKfS0_S0_Pf.num_named_barrier, 0
	.set _Z24kernel_128_winograd_AtIAPKfS0_S0_Pf.private_seg_size, 0
	.set _Z24kernel_128_winograd_AtIAPKfS0_S0_Pf.uses_vcc, 1
	.set _Z24kernel_128_winograd_AtIAPKfS0_S0_Pf.uses_flat_scratch, 0
	.set _Z24kernel_128_winograd_AtIAPKfS0_S0_Pf.has_dyn_sized_stack, 0
	.set _Z24kernel_128_winograd_AtIAPKfS0_S0_Pf.has_recursion, 0
	.set _Z24kernel_128_winograd_AtIAPKfS0_S0_Pf.has_indirect_call, 0
	.section	.AMDGPU.csdata,"",@progbits
; Kernel info:
; codeLenInByte = 1196
; TotalNumSgprs: 22
; NumVgprs: 10
; ScratchSize: 0
; MemoryBound: 0
; FloatMode: 240
; IeeeMode: 1
; LDSByteSize: 8 bytes/workgroup (compile time only)
; SGPRBlocks: 0
; VGPRBlocks: 1
; NumSGPRsForWavesPerEU: 22
; NumVGPRsForWavesPerEU: 10
; Occupancy: 16
; WaveLimiterHint : 0
; COMPUTE_PGM_RSRC2:SCRATCH_EN: 0
; COMPUTE_PGM_RSRC2:USER_SGPR: 6
; COMPUTE_PGM_RSRC2:TRAP_HANDLER: 0
; COMPUTE_PGM_RSRC2:TGID_X_EN: 1
; COMPUTE_PGM_RSRC2:TGID_Y_EN: 1
; COMPUTE_PGM_RSRC2:TGID_Z_EN: 1
; COMPUTE_PGM_RSRC2:TIDIG_COMP_CNT: 1
	.text
	.protected	_Z27kernel_128_OuterProduct_128PKfS0_Pf ; -- Begin function _Z27kernel_128_OuterProduct_128PKfS0_Pf
	.globl	_Z27kernel_128_OuterProduct_128PKfS0_Pf
	.p2align	8
	.type	_Z27kernel_128_OuterProduct_128PKfS0_Pf,@function
_Z27kernel_128_OuterProduct_128PKfS0_Pf: ; @_Z27kernel_128_OuterProduct_128PKfS0_Pf
; %bb.0:
	v_lshl_add_u32 v14, v1, 7, v0
	s_load_dwordx4 s[8:11], s[4:5], 0x0
	s_lshl_b32 s0, s6, 11
	s_lshl_b32 s1, s7, 10
	v_lshl_add_u32 v0, v0, 2, 0
	v_lshl_add_u32 v2, s6, 14, v14
	v_add3_u32 v4, s0, s1, v14
	s_load_dwordx2 s[0:1], s[4:5], 0x10
	v_lshl_add_u32 v1, v1, 9, 0
	v_ashrrev_i32_e32 v3, 31, v2
	v_ashrrev_i32_e32 v5, 31, v4
	v_lshlrev_b64 v[6:7], 2, v[2:3]
	v_lshlrev_b64 v[2:3], 2, v[4:5]
	s_waitcnt lgkmcnt(0)
	v_add_co_u32 v4, vcc_lo, s10, v6
	v_add_co_ci_u32_e64 v5, null, s11, v7, vcc_lo
	v_add_co_u32 v6, vcc_lo, s8, v2
	v_add_co_ci_u32_e64 v7, null, s9, v3, vcc_lo
	;; [unrolled: 2-line block ×5, first 2 shown]
	global_load_dword v7, v[6:7], off
	s_clause 0x3
	global_load_dword v15, v[4:5], off
	global_load_dword v8, v[8:9], off
	;; [unrolled: 1-line block ×4, first 2 shown]
	v_lshl_add_u32 v6, v14, 2, 0
	v_mov_b32_e32 v11, 0
	s_waitcnt vmcnt(3)
	ds_write2st64_b32 v6, v7, v15 offset1:16
	s_waitcnt vmcnt(1)
	ds_write2st64_b32 v6, v8, v9 offset0:32 offset1:48
	s_waitcnt vmcnt(0)
	ds_write2st64_b32 v6, v10, v11 offset0:64 offset1:144
	s_waitcnt lgkmcnt(0)
	s_barrier
	buffer_gl0_inv
	ds_read2st64_b32 v[7:8], v0 offset0:16 offset1:18
	ds_read2_b32 v[9:10], v1 offset1:1
	ds_read2_b32 v[11:12], v1 offset0:2 offset1:3
	ds_read2st64_b32 v[13:14], v0 offset0:20 offset1:22
	ds_read2st64_b32 v[15:16], v0 offset0:24 offset1:26
	ds_read2_b32 v[17:18], v1 offset0:4 offset1:5
	ds_read_b32 v21, v6 offset:36864
	s_waitcnt lgkmcnt(5)
	v_fma_f32 v22, v9, v7, 0
	v_fmac_f32_e32 v22, v10, v8
	ds_read2_b32 v[7:8], v1 offset0:6 offset1:7
	ds_read2st64_b32 v[9:10], v0 offset0:28 offset1:30
	s_waitcnt lgkmcnt(5)
	v_fmac_f32_e32 v22, v11, v13
	v_fmac_f32_e32 v22, v12, v14
	ds_read2_b32 v[11:12], v1 offset0:8 offset1:9
	ds_read2st64_b32 v[13:14], v0 offset0:32 offset1:34
	s_waitcnt lgkmcnt(5)
	v_fmac_f32_e32 v22, v17, v15
	v_fmac_f32_e32 v22, v18, v16
	ds_read2st64_b32 v[15:16], v0 offset0:36 offset1:38
	ds_read2_b32 v[17:18], v1 offset0:10 offset1:11
	ds_read2_b32 v[19:20], v1 offset0:12 offset1:13
	s_waitcnt lgkmcnt(5)
	v_fmac_f32_e32 v22, v7, v9
	v_fmac_f32_e32 v22, v8, v10
	ds_read2st64_b32 v[7:8], v0 offset0:40 offset1:42
	s_waitcnt lgkmcnt(4)
	v_fmac_f32_e32 v22, v11, v13
	v_fmac_f32_e32 v22, v12, v14
	ds_read2_b32 v[9:10], v1 offset0:14 offset1:15
	ds_read2st64_b32 v[11:12], v0 offset0:44 offset1:46
	s_waitcnt lgkmcnt(4)
	v_fmac_f32_e32 v22, v17, v15
	v_fmac_f32_e32 v22, v18, v16
	ds_read2_b32 v[13:14], v1 offset0:16 offset1:17
	ds_read2st64_b32 v[15:16], v0 offset0:48 offset1:50
	s_waitcnt lgkmcnt(4)
	v_fmac_f32_e32 v22, v19, v7
	v_fmac_f32_e32 v22, v20, v8
	ds_read2st64_b32 v[7:8], v0 offset0:52 offset1:54
	ds_read2_b32 v[17:18], v1 offset0:18 offset1:19
	ds_read2_b32 v[19:20], v1 offset0:20 offset1:21
	s_waitcnt lgkmcnt(5)
	v_fmac_f32_e32 v22, v9, v11
	v_fmac_f32_e32 v22, v10, v12
	ds_read2st64_b32 v[9:10], v0 offset0:56 offset1:58
	s_waitcnt lgkmcnt(4)
	v_fmac_f32_e32 v22, v13, v15
	;; [unrolled: 20-line block ×3, first 2 shown]
	v_fmac_f32_e32 v22, v8, v16
	ds_read2_b32 v[7:8], v1 offset0:30 offset1:31
	ds_read2st64_b32 v[13:14], v0 offset0:76 offset1:78
	s_waitcnt lgkmcnt(4)
	v_fmac_f32_e32 v22, v17, v9
	v_add_co_u32 v9, vcc_lo, 0x4000, v4
	v_fmac_f32_e32 v22, v18, v10
	v_add_co_ci_u32_e64 v10, null, 0, v5, vcc_lo
	s_waitcnt lgkmcnt(2)
	v_fmac_f32_e32 v22, v19, v11
	v_add_co_u32 v11, vcc_lo, 0x5000, v4
	v_fmac_f32_e32 v22, v20, v12
	v_add_co_ci_u32_e64 v12, null, 0, v5, vcc_lo
	s_waitcnt lgkmcnt(0)
	v_fmac_f32_e32 v22, v7, v13
	v_add_co_u32 v7, vcc_lo, 0x6000, v4
	v_fmac_f32_e32 v22, v8, v14
	v_add_co_ci_u32_e64 v8, null, 0, v5, vcc_lo
	v_add_co_u32 v13, vcc_lo, 0x7000, v4
	v_add_f32_e32 v15, v22, v21
	v_add_co_ci_u32_e64 v14, null, 0, v5, vcc_lo
	ds_write_b32 v6, v15 offset:36864
	s_waitcnt lgkmcnt(0)
	s_barrier
	buffer_gl0_inv
	s_clause 0x3
	global_load_dword v9, v[9:10], off
	global_load_dword v10, v[11:12], off
	;; [unrolled: 1-line block ×4, first 2 shown]
	s_waitcnt vmcnt(2)
	ds_write2st64_b32 v6, v9, v10 offset0:16 offset1:32
	s_waitcnt vmcnt(0)
	ds_write2st64_b32 v6, v7, v8 offset0:48 offset1:64
	s_waitcnt lgkmcnt(0)
	s_barrier
	buffer_gl0_inv
	ds_read2st64_b32 v[7:8], v0 offset0:16 offset1:18
	ds_read2_b32 v[9:10], v1 offset0:32 offset1:33
	ds_read2_b32 v[11:12], v1 offset0:34 offset1:35
	ds_read2st64_b32 v[13:14], v0 offset0:20 offset1:22
	ds_read2st64_b32 v[15:16], v0 offset0:24 offset1:26
	ds_read2_b32 v[17:18], v1 offset0:36 offset1:37
	ds_read_b32 v21, v6 offset:36864
	s_waitcnt lgkmcnt(5)
	v_fma_f32 v22, v9, v7, 0
	v_fmac_f32_e32 v22, v10, v8
	ds_read2_b32 v[7:8], v1 offset0:38 offset1:39
	ds_read2st64_b32 v[9:10], v0 offset0:28 offset1:30
	s_waitcnt lgkmcnt(5)
	v_fmac_f32_e32 v22, v11, v13
	v_fmac_f32_e32 v22, v12, v14
	ds_read2_b32 v[11:12], v1 offset0:40 offset1:41
	ds_read2st64_b32 v[13:14], v0 offset0:32 offset1:34
	s_waitcnt lgkmcnt(5)
	v_fmac_f32_e32 v22, v17, v15
	v_fmac_f32_e32 v22, v18, v16
	ds_read2st64_b32 v[15:16], v0 offset0:36 offset1:38
	ds_read2_b32 v[17:18], v1 offset0:42 offset1:43
	ds_read2_b32 v[19:20], v1 offset0:44 offset1:45
	s_waitcnt lgkmcnt(5)
	v_fmac_f32_e32 v22, v7, v9
	v_fmac_f32_e32 v22, v8, v10
	ds_read2st64_b32 v[7:8], v0 offset0:40 offset1:42
	s_waitcnt lgkmcnt(4)
	v_fmac_f32_e32 v22, v11, v13
	v_fmac_f32_e32 v22, v12, v14
	ds_read2_b32 v[9:10], v1 offset0:46 offset1:47
	ds_read2st64_b32 v[11:12], v0 offset0:44 offset1:46
	s_waitcnt lgkmcnt(4)
	v_fmac_f32_e32 v22, v17, v15
	v_fmac_f32_e32 v22, v18, v16
	ds_read2_b32 v[13:14], v1 offset0:48 offset1:49
	ds_read2st64_b32 v[15:16], v0 offset0:48 offset1:50
	s_waitcnt lgkmcnt(4)
	v_fmac_f32_e32 v22, v19, v7
	v_fmac_f32_e32 v22, v20, v8
	ds_read2st64_b32 v[7:8], v0 offset0:52 offset1:54
	ds_read2_b32 v[17:18], v1 offset0:50 offset1:51
	ds_read2_b32 v[19:20], v1 offset0:52 offset1:53
	s_waitcnt lgkmcnt(5)
	v_fmac_f32_e32 v22, v9, v11
	v_fmac_f32_e32 v22, v10, v12
	ds_read2st64_b32 v[9:10], v0 offset0:56 offset1:58
	s_waitcnt lgkmcnt(4)
	v_fmac_f32_e32 v22, v13, v15
	v_fmac_f32_e32 v22, v14, v16
	ds_read2_b32 v[11:12], v1 offset0:54 offset1:55
	ds_read2st64_b32 v[13:14], v0 offset0:60 offset1:62
	s_waitcnt lgkmcnt(4)
	v_fmac_f32_e32 v22, v17, v7
	v_fmac_f32_e32 v22, v18, v8
	ds_read2_b32 v[7:8], v1 offset0:56 offset1:57
	ds_read2st64_b32 v[15:16], v0 offset0:64 offset1:66
	s_waitcnt lgkmcnt(4)
	v_fmac_f32_e32 v22, v19, v9
	v_fmac_f32_e32 v22, v20, v10
	ds_read2st64_b32 v[9:10], v0 offset0:68 offset1:70
	ds_read2_b32 v[17:18], v1 offset0:58 offset1:59
	ds_read2_b32 v[19:20], v1 offset0:60 offset1:61
	s_waitcnt lgkmcnt(5)
	v_fmac_f32_e32 v22, v11, v13
	v_fmac_f32_e32 v22, v12, v14
	ds_read2st64_b32 v[11:12], v0 offset0:72 offset1:74
	s_waitcnt lgkmcnt(4)
	v_fmac_f32_e32 v22, v7, v15
	v_fmac_f32_e32 v22, v8, v16
	ds_read2_b32 v[7:8], v1 offset0:62 offset1:63
	ds_read2st64_b32 v[13:14], v0 offset0:76 offset1:78
	s_waitcnt lgkmcnt(4)
	v_fmac_f32_e32 v22, v17, v9
	v_add_co_u32 v9, vcc_lo, 0x8000, v4
	v_fmac_f32_e32 v22, v18, v10
	v_add_co_ci_u32_e64 v10, null, 0, v5, vcc_lo
	s_waitcnt lgkmcnt(2)
	v_fmac_f32_e32 v22, v19, v11
	v_add_co_u32 v11, vcc_lo, 0x9000, v4
	v_fmac_f32_e32 v22, v20, v12
	v_add_co_ci_u32_e64 v12, null, 0, v5, vcc_lo
	;; [unrolled: 5-line block ×3, first 2 shown]
	v_add_co_u32 v13, vcc_lo, 0xb000, v4
	v_add_f32_e32 v15, v22, v21
	v_add_co_ci_u32_e64 v14, null, 0, v5, vcc_lo
	ds_write_b32 v6, v15 offset:36864
	s_waitcnt lgkmcnt(0)
	s_barrier
	buffer_gl0_inv
	s_clause 0x3
	global_load_dword v9, v[9:10], off
	global_load_dword v10, v[11:12], off
	global_load_dword v7, v[7:8], off
	global_load_dword v8, v[13:14], off
	s_waitcnt vmcnt(2)
	ds_write2st64_b32 v6, v9, v10 offset0:16 offset1:32
	s_waitcnt vmcnt(0)
	ds_write2st64_b32 v6, v7, v8 offset0:48 offset1:64
	s_waitcnt lgkmcnt(0)
	s_barrier
	buffer_gl0_inv
	ds_read2st64_b32 v[7:8], v0 offset0:16 offset1:18
	ds_read2_b32 v[9:10], v1 offset0:64 offset1:65
	ds_read2_b32 v[11:12], v1 offset0:66 offset1:67
	ds_read2st64_b32 v[13:14], v0 offset0:20 offset1:22
	ds_read2st64_b32 v[15:16], v0 offset0:24 offset1:26
	ds_read2_b32 v[17:18], v1 offset0:68 offset1:69
	ds_read_b32 v21, v6 offset:36864
	s_waitcnt lgkmcnt(5)
	v_fma_f32 v22, v9, v7, 0
	v_fmac_f32_e32 v22, v10, v8
	ds_read2_b32 v[7:8], v1 offset0:70 offset1:71
	ds_read2st64_b32 v[9:10], v0 offset0:28 offset1:30
	s_waitcnt lgkmcnt(5)
	v_fmac_f32_e32 v22, v11, v13
	v_fmac_f32_e32 v22, v12, v14
	ds_read2_b32 v[11:12], v1 offset0:72 offset1:73
	ds_read2st64_b32 v[13:14], v0 offset0:32 offset1:34
	s_waitcnt lgkmcnt(5)
	v_fmac_f32_e32 v22, v17, v15
	v_fmac_f32_e32 v22, v18, v16
	ds_read2st64_b32 v[15:16], v0 offset0:36 offset1:38
	ds_read2_b32 v[17:18], v1 offset0:74 offset1:75
	ds_read2_b32 v[19:20], v1 offset0:76 offset1:77
	s_waitcnt lgkmcnt(5)
	v_fmac_f32_e32 v22, v7, v9
	v_fmac_f32_e32 v22, v8, v10
	ds_read2st64_b32 v[7:8], v0 offset0:40 offset1:42
	s_waitcnt lgkmcnt(4)
	v_fmac_f32_e32 v22, v11, v13
	v_fmac_f32_e32 v22, v12, v14
	ds_read2_b32 v[9:10], v1 offset0:78 offset1:79
	ds_read2st64_b32 v[11:12], v0 offset0:44 offset1:46
	s_waitcnt lgkmcnt(4)
	v_fmac_f32_e32 v22, v17, v15
	v_fmac_f32_e32 v22, v18, v16
	ds_read2_b32 v[13:14], v1 offset0:80 offset1:81
	ds_read2st64_b32 v[15:16], v0 offset0:48 offset1:50
	s_waitcnt lgkmcnt(4)
	v_fmac_f32_e32 v22, v19, v7
	v_fmac_f32_e32 v22, v20, v8
	ds_read2st64_b32 v[7:8], v0 offset0:52 offset1:54
	ds_read2_b32 v[17:18], v1 offset0:82 offset1:83
	ds_read2_b32 v[19:20], v1 offset0:84 offset1:85
	s_waitcnt lgkmcnt(5)
	v_fmac_f32_e32 v22, v9, v11
	v_fmac_f32_e32 v22, v10, v12
	ds_read2st64_b32 v[9:10], v0 offset0:56 offset1:58
	s_waitcnt lgkmcnt(4)
	v_fmac_f32_e32 v22, v13, v15
	;; [unrolled: 20-line block ×3, first 2 shown]
	v_fmac_f32_e32 v22, v8, v16
	ds_read2_b32 v[7:8], v1 offset0:94 offset1:95
	ds_read2st64_b32 v[13:14], v0 offset0:76 offset1:78
	s_waitcnt lgkmcnt(4)
	v_fmac_f32_e32 v22, v17, v9
	v_add_co_u32 v9, vcc_lo, 0xc000, v4
	v_fmac_f32_e32 v22, v18, v10
	v_add_co_ci_u32_e64 v10, null, 0, v5, vcc_lo
	s_waitcnt lgkmcnt(2)
	v_fmac_f32_e32 v22, v19, v11
	v_add_co_u32 v11, vcc_lo, 0xd000, v4
	v_fmac_f32_e32 v22, v20, v12
	v_add_co_ci_u32_e64 v12, null, 0, v5, vcc_lo
	;; [unrolled: 5-line block ×3, first 2 shown]
	v_add_co_u32 v4, vcc_lo, 0xf000, v4
	v_add_f32_e32 v13, v22, v21
	v_add_co_ci_u32_e64 v5, null, 0, v5, vcc_lo
	ds_write_b32 v6, v13 offset:36864
	s_waitcnt lgkmcnt(0)
	s_barrier
	buffer_gl0_inv
	s_clause 0x3
	global_load_dword v9, v[9:10], off
	global_load_dword v10, v[11:12], off
	;; [unrolled: 1-line block ×4, first 2 shown]
	s_waitcnt vmcnt(2)
	ds_write2st64_b32 v6, v9, v10 offset0:16 offset1:32
	s_waitcnt vmcnt(0)
	ds_write2st64_b32 v6, v7, v4 offset0:48 offset1:64
	s_waitcnt lgkmcnt(0)
	s_barrier
	buffer_gl0_inv
	ds_read2st64_b32 v[4:5], v0 offset0:16 offset1:18
	ds_read2_b32 v[7:8], v1 offset0:96 offset1:97
	ds_read2_b32 v[9:10], v1 offset0:98 offset1:99
	ds_read2st64_b32 v[11:12], v0 offset0:20 offset1:22
	ds_read2st64_b32 v[13:14], v0 offset0:24 offset1:26
	ds_read2_b32 v[15:16], v1 offset0:100 offset1:101
	ds_read_b32 v19, v6 offset:36864
	s_waitcnt lgkmcnt(5)
	v_fma_f32 v20, v7, v4, 0
	v_fmac_f32_e32 v20, v8, v5
	ds_read2_b32 v[4:5], v1 offset0:102 offset1:103
	ds_read2st64_b32 v[7:8], v0 offset0:28 offset1:30
	s_waitcnt lgkmcnt(5)
	v_fmac_f32_e32 v20, v9, v11
	v_fmac_f32_e32 v20, v10, v12
	ds_read2_b32 v[9:10], v1 offset0:104 offset1:105
	ds_read2st64_b32 v[11:12], v0 offset0:32 offset1:34
	s_waitcnt lgkmcnt(5)
	v_fmac_f32_e32 v20, v15, v13
	v_fmac_f32_e32 v20, v16, v14
	ds_read2st64_b32 v[13:14], v0 offset0:36 offset1:38
	ds_read2_b32 v[15:16], v1 offset0:106 offset1:107
	ds_read2_b32 v[17:18], v1 offset0:108 offset1:109
	s_waitcnt lgkmcnt(5)
	v_fmac_f32_e32 v20, v4, v7
	v_fmac_f32_e32 v20, v5, v8
	ds_read2st64_b32 v[4:5], v0 offset0:40 offset1:42
	s_waitcnt lgkmcnt(4)
	v_fmac_f32_e32 v20, v9, v11
	v_fmac_f32_e32 v20, v10, v12
	ds_read2_b32 v[7:8], v1 offset0:110 offset1:111
	ds_read2st64_b32 v[9:10], v0 offset0:44 offset1:46
	s_waitcnt lgkmcnt(4)
	v_fmac_f32_e32 v20, v15, v13
	v_fmac_f32_e32 v20, v16, v14
	ds_read2_b32 v[11:12], v1 offset0:112 offset1:113
	ds_read2st64_b32 v[13:14], v0 offset0:48 offset1:50
	s_waitcnt lgkmcnt(4)
	v_fmac_f32_e32 v20, v17, v4
	v_fmac_f32_e32 v20, v18, v5
	ds_read2st64_b32 v[4:5], v0 offset0:52 offset1:54
	ds_read2_b32 v[15:16], v1 offset0:114 offset1:115
	ds_read2_b32 v[17:18], v1 offset0:116 offset1:117
	s_waitcnt lgkmcnt(5)
	v_fmac_f32_e32 v20, v7, v9
	v_fmac_f32_e32 v20, v8, v10
	ds_read2st64_b32 v[7:8], v0 offset0:56 offset1:58
	s_waitcnt lgkmcnt(4)
	v_fmac_f32_e32 v20, v11, v13
	;; [unrolled: 20-line block ×3, first 2 shown]
	v_fmac_f32_e32 v20, v5, v14
	ds_read2_b32 v[4:5], v1 offset0:126 offset1:127
	ds_read2st64_b32 v[0:1], v0 offset0:76 offset1:78
	s_waitcnt lgkmcnt(4)
	v_fmac_f32_e32 v20, v15, v7
	v_fmac_f32_e32 v20, v16, v8
	s_waitcnt lgkmcnt(2)
	v_fmac_f32_e32 v20, v17, v9
	v_fmac_f32_e32 v20, v18, v10
	;; [unrolled: 3-line block ×3, first 2 shown]
	v_add_f32_e32 v0, v20, v19
	ds_write_b32 v6, v0 offset:36864
	s_waitcnt lgkmcnt(0)
	s_barrier
	buffer_gl0_inv
	ds_read_b32 v4, v6 offset:36864
	v_add_co_u32 v0, vcc_lo, s0, v2
	v_add_co_ci_u32_e64 v1, null, s1, v3, vcc_lo
	s_waitcnt lgkmcnt(0)
	global_store_dword v[0:1], v4, off
	s_endpgm
	.section	.rodata,"a",@progbits
	.p2align	6, 0x0
	.amdhsa_kernel _Z27kernel_128_OuterProduct_128PKfS0_Pf
		.amdhsa_group_segment_fixed_size 0
		.amdhsa_private_segment_fixed_size 0
		.amdhsa_kernarg_size 24
		.amdhsa_user_sgpr_count 6
		.amdhsa_user_sgpr_private_segment_buffer 1
		.amdhsa_user_sgpr_dispatch_ptr 0
		.amdhsa_user_sgpr_queue_ptr 0
		.amdhsa_user_sgpr_kernarg_segment_ptr 1
		.amdhsa_user_sgpr_dispatch_id 0
		.amdhsa_user_sgpr_flat_scratch_init 0
		.amdhsa_user_sgpr_private_segment_size 0
		.amdhsa_wavefront_size32 1
		.amdhsa_uses_dynamic_stack 0
		.amdhsa_system_sgpr_private_segment_wavefront_offset 0
		.amdhsa_system_sgpr_workgroup_id_x 1
		.amdhsa_system_sgpr_workgroup_id_y 1
		.amdhsa_system_sgpr_workgroup_id_z 0
		.amdhsa_system_sgpr_workgroup_info 0
		.amdhsa_system_vgpr_workitem_id 1
		.amdhsa_next_free_vgpr 23
		.amdhsa_next_free_sgpr 12
		.amdhsa_reserve_vcc 1
		.amdhsa_reserve_flat_scratch 0
		.amdhsa_float_round_mode_32 0
		.amdhsa_float_round_mode_16_64 0
		.amdhsa_float_denorm_mode_32 3
		.amdhsa_float_denorm_mode_16_64 3
		.amdhsa_dx10_clamp 1
		.amdhsa_ieee_mode 1
		.amdhsa_fp16_overflow 0
		.amdhsa_workgroup_processor_mode 1
		.amdhsa_memory_ordered 1
		.amdhsa_forward_progress 1
		.amdhsa_shared_vgpr_count 0
		.amdhsa_exception_fp_ieee_invalid_op 0
		.amdhsa_exception_fp_denorm_src 0
		.amdhsa_exception_fp_ieee_div_zero 0
		.amdhsa_exception_fp_ieee_overflow 0
		.amdhsa_exception_fp_ieee_underflow 0
		.amdhsa_exception_fp_ieee_inexact 0
		.amdhsa_exception_int_div_zero 0
	.end_amdhsa_kernel
	.text
.Lfunc_end2:
	.size	_Z27kernel_128_OuterProduct_128PKfS0_Pf, .Lfunc_end2-_Z27kernel_128_OuterProduct_128PKfS0_Pf
                                        ; -- End function
	.set _Z27kernel_128_OuterProduct_128PKfS0_Pf.num_vgpr, 23
	.set _Z27kernel_128_OuterProduct_128PKfS0_Pf.num_agpr, 0
	.set _Z27kernel_128_OuterProduct_128PKfS0_Pf.numbered_sgpr, 12
	.set _Z27kernel_128_OuterProduct_128PKfS0_Pf.num_named_barrier, 0
	.set _Z27kernel_128_OuterProduct_128PKfS0_Pf.private_seg_size, 0
	.set _Z27kernel_128_OuterProduct_128PKfS0_Pf.uses_vcc, 1
	.set _Z27kernel_128_OuterProduct_128PKfS0_Pf.uses_flat_scratch, 0
	.set _Z27kernel_128_OuterProduct_128PKfS0_Pf.has_dyn_sized_stack, 0
	.set _Z27kernel_128_OuterProduct_128PKfS0_Pf.has_recursion, 0
	.set _Z27kernel_128_OuterProduct_128PKfS0_Pf.has_indirect_call, 0
	.section	.AMDGPU.csdata,"",@progbits
; Kernel info:
; codeLenInByte = 2752
; TotalNumSgprs: 14
; NumVgprs: 23
; ScratchSize: 0
; MemoryBound: 0
; FloatMode: 240
; IeeeMode: 1
; LDSByteSize: 0 bytes/workgroup (compile time only)
; SGPRBlocks: 0
; VGPRBlocks: 2
; NumSGPRsForWavesPerEU: 14
; NumVGPRsForWavesPerEU: 23
; Occupancy: 16
; WaveLimiterHint : 1
; COMPUTE_PGM_RSRC2:SCRATCH_EN: 0
; COMPUTE_PGM_RSRC2:USER_SGPR: 6
; COMPUTE_PGM_RSRC2:TRAP_HANDLER: 0
; COMPUTE_PGM_RSRC2:TGID_X_EN: 1
; COMPUTE_PGM_RSRC2:TGID_Y_EN: 1
; COMPUTE_PGM_RSRC2:TGID_Z_EN: 0
; COMPUTE_PGM_RSRC2:TIDIG_COMP_CNT: 1
	.text
	.p2alignl 6, 3214868480
	.fill 48, 4, 3214868480
	.section	.AMDGPU.gpr_maximums,"",@progbits
	.set amdgpu.max_num_vgpr, 0
	.set amdgpu.max_num_agpr, 0
	.set amdgpu.max_num_sgpr, 0
	.text
	.type	__hip_cuid_8a6ea0fb350fcdc5,@object ; @__hip_cuid_8a6ea0fb350fcdc5
	.section	.bss,"aw",@nobits
	.globl	__hip_cuid_8a6ea0fb350fcdc5
__hip_cuid_8a6ea0fb350fcdc5:
	.byte	0                               ; 0x0
	.size	__hip_cuid_8a6ea0fb350fcdc5, 1

	.ident	"AMD clang version 22.0.0git (https://github.com/RadeonOpenCompute/llvm-project roc-7.2.4 26084 f58b06dce1f9c15707c5f808fd002e18c2accf7e)"
	.section	".note.GNU-stack","",@progbits
	.addrsig
	.addrsig_sym __hip_cuid_8a6ea0fb350fcdc5
	.amdgpu_metadata
---
amdhsa.kernels:
  - .args:
      - .actual_access:  read_only
        .address_space:  global
        .offset:         0
        .size:           8
        .value_kind:     global_buffer
      - .actual_access:  write_only
        .address_space:  global
        .offset:         8
        .size:           8
        .value_kind:     global_buffer
    .group_segment_fixed_size: 0
    .kernarg_segment_align: 8
    .kernarg_segment_size: 16
    .language:       OpenCL C
    .language_version:
      - 2
      - 0
    .max_flat_workgroup_size: 1024
    .name:           _Z24kernel_128_winograd_BtdBPKfPf
    .private_segment_fixed_size: 0
    .sgpr_count:     10
    .sgpr_spill_count: 0
    .symbol:         _Z24kernel_128_winograd_BtdBPKfPf.kd
    .uniform_work_group_size: 1
    .uses_dynamic_stack: false
    .vgpr_count:     27
    .vgpr_spill_count: 0
    .wavefront_size: 32
    .workgroup_processor_mode: 1
  - .args:
      - .actual_access:  read_only
        .address_space:  global
        .offset:         0
        .size:           8
        .value_kind:     global_buffer
      - .actual_access:  read_only
        .address_space:  global
        .offset:         8
        .size:           8
        .value_kind:     global_buffer
      - .actual_access:  read_only
        .address_space:  global
        .offset:         16
        .size:           8
        .value_kind:     global_buffer
      - .actual_access:  write_only
        .address_space:  global
        .offset:         24
        .size:           8
        .value_kind:     global_buffer
    .group_segment_fixed_size: 8
    .kernarg_segment_align: 8
    .kernarg_segment_size: 32
    .language:       OpenCL C
    .language_version:
      - 2
      - 0
    .max_flat_workgroup_size: 1024
    .name:           _Z24kernel_128_winograd_AtIAPKfS0_S0_Pf
    .private_segment_fixed_size: 0
    .sgpr_count:     22
    .sgpr_spill_count: 0
    .symbol:         _Z24kernel_128_winograd_AtIAPKfS0_S0_Pf.kd
    .uniform_work_group_size: 1
    .uses_dynamic_stack: false
    .vgpr_count:     10
    .vgpr_spill_count: 0
    .wavefront_size: 32
    .workgroup_processor_mode: 1
  - .args:
      - .actual_access:  read_only
        .address_space:  global
        .offset:         0
        .size:           8
        .value_kind:     global_buffer
      - .actual_access:  read_only
        .address_space:  global
        .offset:         8
        .size:           8
        .value_kind:     global_buffer
      - .actual_access:  write_only
        .address_space:  global
        .offset:         16
        .size:           8
        .value_kind:     global_buffer
    .group_segment_fixed_size: 0
    .kernarg_segment_align: 8
    .kernarg_segment_size: 24
    .language:       OpenCL C
    .language_version:
      - 2
      - 0
    .max_flat_workgroup_size: 1024
    .name:           _Z27kernel_128_OuterProduct_128PKfS0_Pf
    .private_segment_fixed_size: 0
    .sgpr_count:     14
    .sgpr_spill_count: 0
    .symbol:         _Z27kernel_128_OuterProduct_128PKfS0_Pf.kd
    .uniform_work_group_size: 1
    .uses_dynamic_stack: false
    .vgpr_count:     23
    .vgpr_spill_count: 0
    .wavefront_size: 32
    .workgroup_processor_mode: 1
amdhsa.target:   amdgcn-amd-amdhsa--gfx1030
amdhsa.version:
  - 1
  - 2
...

	.end_amdgpu_metadata
